;; amdgpu-corpus repo=ROCm/HIPIFY kind=compiled arch=gfx906 opt=O3
	.amdgcn_target "amdgcn-amd-amdhsa--gfx906"
	.amdhsa_code_object_version 6
	.text
	.protected	_Z3addPKvPK15graph_control_tPKfPf ; -- Begin function _Z3addPKvPK15graph_control_tPKfPf
	.globl	_Z3addPKvPK15graph_control_tPKfPf
	.p2align	8
	.type	_Z3addPKvPK15graph_control_tPKfPf,@function
_Z3addPKvPK15graph_control_tPKfPf:      ; @_Z3addPKvPK15graph_control_tPKfPf
; %bb.0:
	s_load_dwordx8 s[8:15], s[4:5], 0x0
	s_waitcnt lgkmcnt(0)
	s_load_dword s0, s[8:9], 0x0
	s_waitcnt lgkmcnt(0)
	s_ashr_i32 s1, s0, 31
	s_lshl_b64 s[0:1], s[0:1], 3
	s_add_u32 s0, s10, s0
	s_addc_u32 s1, s11, s1
	s_load_dwordx2 s[0:1], s[0:1], 0x0
	s_waitcnt lgkmcnt(0)
	v_mov_b32_e32 v2, s1
	v_mov_b32_e32 v1, s0
	flat_load_dwordx2 v[1:2], v[1:2]
	s_waitcnt vmcnt(0) lgkmcnt(0)
	v_cmp_eq_u32_e32 vcc, v0, v1
	s_and_saveexec_b64 s[0:1], vcc
	s_cbranch_execz .LBB0_3
; %bb.1:
	v_lshlrev_b32_e32 v1, 2, v0
	v_mov_b32_e32 v4, s13
	v_add_co_u32_e32 v3, vcc, s12, v1
	v_cvt_f32_u32_e32 v5, v0
	v_addc_co_u32_e32 v4, vcc, 0, v4, vcc
	v_mov_b32_e32 v6, s15
	v_add_co_u32_e32 v0, vcc, s14, v1
	v_addc_co_u32_e32 v1, vcc, 0, v6, vcc
	s_movk_i32 s0, 0x64
.LBB0_2:                                ; =>This Inner Loop Header: Depth=1
	global_load_dword v6, v[3:4], off
	s_sub_i32 s0, s0, 20
	s_cmp_lg_u32 s0, 0
	s_waitcnt vmcnt(0)
	v_add_f32_e32 v6, v2, v6
	v_add_f32_e32 v6, v6, v5
	global_store_dword v[0:1], v6, off
	global_load_dword v6, v[3:4], off
	s_waitcnt vmcnt(0)
	v_add_f32_e32 v6, v2, v6
	v_add_f32_e32 v6, v6, v5
	global_store_dword v[0:1], v6, off
	global_load_dword v6, v[3:4], off
	;; [unrolled: 5-line block ×19, first 2 shown]
	s_waitcnt vmcnt(0)
	v_add_f32_e32 v6, v2, v6
	v_add_f32_e32 v6, v6, v5
	global_store_dword v[0:1], v6, off
	s_cbranch_scc1 .LBB0_2
.LBB0_3:
	s_endpgm
	.section	.rodata,"a",@progbits
	.p2align	6, 0x0
	.amdhsa_kernel _Z3addPKvPK15graph_control_tPKfPf
		.amdhsa_group_segment_fixed_size 0
		.amdhsa_private_segment_fixed_size 0
		.amdhsa_kernarg_size 32
		.amdhsa_user_sgpr_count 6
		.amdhsa_user_sgpr_private_segment_buffer 1
		.amdhsa_user_sgpr_dispatch_ptr 0
		.amdhsa_user_sgpr_queue_ptr 0
		.amdhsa_user_sgpr_kernarg_segment_ptr 1
		.amdhsa_user_sgpr_dispatch_id 0
		.amdhsa_user_sgpr_flat_scratch_init 0
		.amdhsa_user_sgpr_private_segment_size 0
		.amdhsa_uses_dynamic_stack 0
		.amdhsa_system_sgpr_private_segment_wavefront_offset 0
		.amdhsa_system_sgpr_workgroup_id_x 1
		.amdhsa_system_sgpr_workgroup_id_y 0
		.amdhsa_system_sgpr_workgroup_id_z 0
		.amdhsa_system_sgpr_workgroup_info 0
		.amdhsa_system_vgpr_workitem_id 0
		.amdhsa_next_free_vgpr 7
		.amdhsa_next_free_sgpr 16
		.amdhsa_reserve_vcc 1
		.amdhsa_reserve_flat_scratch 0
		.amdhsa_float_round_mode_32 0
		.amdhsa_float_round_mode_16_64 0
		.amdhsa_float_denorm_mode_32 3
		.amdhsa_float_denorm_mode_16_64 3
		.amdhsa_dx10_clamp 1
		.amdhsa_ieee_mode 1
		.amdhsa_fp16_overflow 0
		.amdhsa_exception_fp_ieee_invalid_op 0
		.amdhsa_exception_fp_denorm_src 0
		.amdhsa_exception_fp_ieee_div_zero 0
		.amdhsa_exception_fp_ieee_overflow 0
		.amdhsa_exception_fp_ieee_underflow 0
		.amdhsa_exception_fp_ieee_inexact 0
		.amdhsa_exception_int_div_zero 0
	.end_amdhsa_kernel
	.text
.Lfunc_end0:
	.size	_Z3addPKvPK15graph_control_tPKfPf, .Lfunc_end0-_Z3addPKvPK15graph_control_tPKfPf
                                        ; -- End function
	.set _Z3addPKvPK15graph_control_tPKfPf.num_vgpr, 7
	.set _Z3addPKvPK15graph_control_tPKfPf.num_agpr, 0
	.set _Z3addPKvPK15graph_control_tPKfPf.numbered_sgpr, 16
	.set _Z3addPKvPK15graph_control_tPKfPf.num_named_barrier, 0
	.set _Z3addPKvPK15graph_control_tPKfPf.private_seg_size, 0
	.set _Z3addPKvPK15graph_control_tPKfPf.uses_vcc, 1
	.set _Z3addPKvPK15graph_control_tPKfPf.uses_flat_scratch, 0
	.set _Z3addPKvPK15graph_control_tPKfPf.has_dyn_sized_stack, 0
	.set _Z3addPKvPK15graph_control_tPKfPf.has_recursion, 0
	.set _Z3addPKvPK15graph_control_tPKfPf.has_indirect_call, 0
	.section	.AMDGPU.csdata,"",@progbits
; Kernel info:
; codeLenInByte = 696
; TotalNumSgprs: 20
; NumVgprs: 7
; ScratchSize: 0
; MemoryBound: 0
; FloatMode: 240
; IeeeMode: 1
; LDSByteSize: 0 bytes/workgroup (compile time only)
; SGPRBlocks: 2
; VGPRBlocks: 1
; NumSGPRsForWavesPerEU: 20
; NumVGPRsForWavesPerEU: 7
; Occupancy: 10
; WaveLimiterHint : 1
; COMPUTE_PGM_RSRC2:SCRATCH_EN: 0
; COMPUTE_PGM_RSRC2:USER_SGPR: 6
; COMPUTE_PGM_RSRC2:TRAP_HANDLER: 0
; COMPUTE_PGM_RSRC2:TGID_X_EN: 1
; COMPUTE_PGM_RSRC2:TGID_Y_EN: 0
; COMPUTE_PGM_RSRC2:TGID_Z_EN: 0
; COMPUTE_PGM_RSRC2:TIDIG_COMP_CNT: 0
	.section	.AMDGPU.gpr_maximums,"",@progbits
	.set amdgpu.max_num_vgpr, 0
	.set amdgpu.max_num_agpr, 0
	.set amdgpu.max_num_sgpr, 0
	.section	.AMDGPU.csdata,"",@progbits
	.type	__hip_cuid_24af62213a11c761,@object ; @__hip_cuid_24af62213a11c761
	.section	.bss,"aw",@nobits
	.globl	__hip_cuid_24af62213a11c761
__hip_cuid_24af62213a11c761:
	.byte	0                               ; 0x0
	.size	__hip_cuid_24af62213a11c761, 1

	.ident	"AMD clang version 22.0.0git (https://github.com/RadeonOpenCompute/llvm-project roc-7.2.4 26084 f58b06dce1f9c15707c5f808fd002e18c2accf7e)"
	.section	".note.GNU-stack","",@progbits
	.addrsig
	.addrsig_sym __hip_cuid_24af62213a11c761
	.amdgpu_metadata
---
amdhsa.kernels:
  - .args:
      - .address_space:  global
        .offset:         0
        .size:           8
        .value_kind:     global_buffer
      - .address_space:  global
        .offset:         8
        .size:           8
        .value_kind:     global_buffer
      - .address_space:  global
        .offset:         16
        .size:           8
        .value_kind:     global_buffer
      - .address_space:  global
        .offset:         24
        .size:           8
        .value_kind:     global_buffer
    .group_segment_fixed_size: 0
    .kernarg_segment_align: 8
    .kernarg_segment_size: 32
    .language:       OpenCL C
    .language_version:
      - 2
      - 0
    .max_flat_workgroup_size: 1024
    .name:           _Z3addPKvPK15graph_control_tPKfPf
    .private_segment_fixed_size: 0
    .sgpr_count:     20
    .sgpr_spill_count: 0
    .symbol:         _Z3addPKvPK15graph_control_tPKfPf.kd
    .uniform_work_group_size: 1
    .uses_dynamic_stack: false
    .vgpr_count:     7
    .vgpr_spill_count: 0
    .wavefront_size: 64
amdhsa.target:   amdgcn-amd-amdhsa--gfx906
amdhsa.version:
  - 1
  - 2
...

	.end_amdgpu_metadata
